;; amdgpu-corpus repo=ROCm/rocFFT kind=compiled arch=gfx1030 opt=O3
	.text
	.amdgcn_target "amdgcn-amd-amdhsa--gfx1030"
	.amdhsa_code_object_version 6
	.protected	fft_rtc_fwd_len169_factors_13_13_wgs_156_tpt_13_sp_op_CI_CI_sbrc_xy_z_unaligned_dirReg ; -- Begin function fft_rtc_fwd_len169_factors_13_13_wgs_156_tpt_13_sp_op_CI_CI_sbrc_xy_z_unaligned_dirReg
	.globl	fft_rtc_fwd_len169_factors_13_13_wgs_156_tpt_13_sp_op_CI_CI_sbrc_xy_z_unaligned_dirReg
	.p2align	8
	.type	fft_rtc_fwd_len169_factors_13_13_wgs_156_tpt_13_sp_op_CI_CI_sbrc_xy_z_unaligned_dirReg,@function
fft_rtc_fwd_len169_factors_13_13_wgs_156_tpt_13_sp_op_CI_CI_sbrc_xy_z_unaligned_dirReg: ; @fft_rtc_fwd_len169_factors_13_13_wgs_156_tpt_13_sp_op_CI_CI_sbrc_xy_z_unaligned_dirReg
; %bb.0:
	s_clause 0x1
	s_load_dwordx4 s[0:3], s[4:5], 0x10
	s_load_dwordx2 s[22:23], s[4:5], 0x20
	s_waitcnt lgkmcnt(0)
	s_load_dwordx4 s[8:11], s[0:1], 0x8
	s_clause 0x1
	s_load_dwordx4 s[12:15], s[2:3], 0x0
	s_load_dwordx2 s[16:17], s[2:3], 0x10
	s_waitcnt lgkmcnt(0)
	s_add_i32 s0, s10, -1
	s_mul_hi_u32 s0, s0, 0xaaaaaaab
	s_lshr_b32 s0, s0, 3
	s_add_i32 s0, s0, 1
	s_mul_i32 s0, s0, s8
	v_cvt_f32_u32_e32 v1, s0
	s_sub_i32 s7, 0, s0
	v_rcp_iflag_f32_e32 v1, v1
	v_mul_f32_e32 v1, 0x4f7ffffe, v1
	v_cvt_u32_f32_e32 v1, v1
	v_readfirstlane_b32 s1, v1
	v_cvt_f32_u32_e32 v1, s8
	s_mul_i32 s7, s7, s1
	s_mul_hi_u32 s7, s1, s7
	s_add_i32 s1, s1, s7
	s_mul_hi_u32 s1, s6, s1
	s_mul_i32 s7, s1, s0
	s_add_i32 s11, s1, 1
	s_sub_i32 s7, s6, s7
	s_sub_i32 s15, s7, s0
	s_cmp_ge_u32 s7, s0
	s_cselect_b32 s1, s11, s1
	s_cselect_b32 s7, s15, s7
	s_add_i32 s11, s1, 1
	s_cmp_ge_u32 s7, s0
	s_mov_b32 s7, 0
	s_cselect_b32 s17, s11, s1
	s_mov_b32 s19, s7
	s_mul_i32 s0, s17, s0
	s_sub_i32 s18, s6, s0
	v_cmp_lt_u64_e64 s0, s[18:19], s[8:9]
	s_and_b32 vcc_lo, exec_lo, s0
	s_mov_b64 s[0:1], 0
	s_cbranch_vccnz .LBB0_2
; %bb.1:
	v_rcp_iflag_f32_e32 v2, v1
	s_sub_i32 s1, 0, s8
	v_mul_f32_e32 v2, 0x4f7ffffe, v2
	v_cvt_u32_f32_e32 v2, v2
	v_readfirstlane_b32 s0, v2
	s_mul_i32 s1, s1, s0
	s_mul_hi_u32 s1, s0, s1
	s_add_i32 s0, s0, s1
	s_mul_hi_u32 s0, s18, s0
	s_mul_i32 s1, s0, s8
	s_add_i32 s11, s0, 1
	s_sub_i32 s1, s18, s1
	s_sub_i32 s15, s1, s8
	s_cmp_ge_u32 s1, s8
	s_cselect_b32 s0, s11, s0
	s_cselect_b32 s1, s15, s1
	s_add_i32 s11, s0, 1
	s_cmp_ge_u32 s1, s8
	s_cselect_b32 s0, s11, s0
.LBB0_2:
	s_load_dwordx2 s[18:19], s[4:5], 0x58
	v_cmp_lt_u64_e64 s1, s[6:7], s[8:9]
	s_and_b32 vcc_lo, exec_lo, s1
	s_cbranch_vccnz .LBB0_4
; %bb.3:
	v_rcp_iflag_f32_e32 v1, v1
	s_sub_i32 s7, 0, s8
	v_mul_f32_e32 v1, 0x4f7ffffe, v1
	v_cvt_u32_f32_e32 v1, v1
	v_readfirstlane_b32 s1, v1
	s_mul_i32 s7, s7, s1
	s_mul_hi_u32 s7, s1, s7
	s_add_i32 s1, s1, s7
	s_mul_hi_u32 s1, s6, s1
	s_mul_i32 s1, s1, s8
	s_sub_i32 s1, s6, s1
	s_sub_i32 s6, s1, s8
	s_cmp_ge_u32 s1, s8
	s_cselect_b32 s1, s6, s1
	s_sub_i32 s6, s1, s8
	s_cmp_ge_u32 s1, s8
	s_cselect_b32 s6, s6, s1
.LBB0_4:
	s_load_dwordx2 s[8:9], s[4:5], 0x8
	s_mul_i32 s24, s0, 12
	s_mul_i32 s7, s6, s14
	s_mul_i32 s11, s24, s16
	s_add_i32 s7, s7, s11
	s_mov_b32 s11, -1
	s_waitcnt lgkmcnt(0)
	s_lshl_b64 s[0:1], s[8:9], 3
	s_add_u32 s2, s2, s0
	s_addc_u32 s3, s3, s1
	s_load_dwordx2 s[2:3], s[2:3], 0x0
	s_waitcnt lgkmcnt(0)
	s_mul_i32 s3, s3, s17
	s_mul_hi_u32 s8, s2, s17
	s_mul_i32 s2, s2, s17
	s_add_i32 s8, s8, s3
	s_add_u32 s20, s2, s7
	s_addc_u32 s21, s8, 0
	s_add_u32 s8, s22, s0
	s_addc_u32 s9, s23, s1
	s_clause 0x2
	s_load_dwordx4 s[0:3], s[22:23], 0x0
	s_load_dwordx2 s[14:15], s[22:23], 0x10
	s_load_dwordx2 s[8:9], s[8:9], 0x0
	s_waitcnt lgkmcnt(0)
	s_add_i32 s3, s24, 12
	s_mov_b32 s7, 0
	s_cmp_le_u32 s3, s10
	s_cselect_b32 s3, -1, 0
	s_and_b32 vcc_lo, exec_lo, s3
	s_cbranch_vccnz .LBB0_8
; %bb.5:
	s_lshl_b64 s[22:23], s[20:21], 3
	v_mov_b32_e32 v2, 0
	v_mov_b32_e32 v3, 0xc1e5
	;; [unrolled: 1-line block ×3, first 2 shown]
	s_add_u32 s11, s18, s22
	s_addc_u32 s15, s19, s23
	s_inst_prefetch 0x1
	.p2align	6
.LBB0_6:                                ; =>This Inner Loop Header: Depth=1
	v_mul_u32_u24_sdwa v1, v4, v3 dst_sel:DWORD dst_unused:UNUSED_PAD src0_sel:WORD_0 src1_sel:DWORD
	v_lshrrev_b32_e32 v9, 23, v1
	v_mul_lo_u16 v1, 0xa9, v9
	v_sub_nc_u16 v10, v4, v1
	v_add_nc_u32_e32 v4, 0x9c, v4
	v_and_b32_e32 v7, 0xffff, v10
	v_mad_u64_u32 v[5:6], null, s12, v7, 0
	v_mov_b32_e32 v1, v6
	v_mad_u64_u32 v[6:7], null, s13, v7, v[1:2]
	v_mul_lo_u32 v1, s16, v9
	v_lshlrev_b64 v[5:6], 3, v[5:6]
	v_lshlrev_b64 v[7:8], 3, v[1:2]
	v_add_co_u32 v1, vcc_lo, s11, v5
	v_add_co_ci_u32_e32 v6, vcc_lo, s15, v6, vcc_lo
	v_add_co_u32 v5, vcc_lo, v1, v7
	v_add_co_ci_u32_e32 v6, vcc_lo, v6, v8, vcc_lo
	v_mad_u16 v1, v10, 12, v9
	v_cmp_lt_u32_e32 vcc_lo, 0x7eb, v4
	global_load_dwordx2 v[5:6], v[5:6], off
	v_and_b32_e32 v1, 0xffff, v1
	s_or_b32 s7, vcc_lo, s7
	v_lshl_add_u32 v1, v1, 3, 0
	s_waitcnt vmcnt(0)
	ds_write_b64 v1, v[5:6]
	s_andn2_b32 exec_lo, exec_lo, s7
	s_cbranch_execnz .LBB0_6
; %bb.7:
	s_inst_prefetch 0x2
	s_or_b32 exec_lo, exec_lo, s7
	s_mov_b32 s11, 0
.LBB0_8:
	s_and_b32 vcc_lo, exec_lo, s11
	s_cbranch_vccz .LBB0_10
; %bb.9:
	v_mov_b32_e32 v9, 0x184
	v_add_nc_u16 v1, v0, 0x9c
	v_add_nc_u16 v3, v0, 0x138
	;; [unrolled: 1-line block ×4, first 2 shown]
	v_mul_u32_u24_sdwa v2, v0, v9 dst_sel:DWORD dst_unused:UNUSED_PAD src0_sel:WORD_0 src1_sel:DWORD
	v_mul_u32_u24_sdwa v4, v1, v9 dst_sel:DWORD dst_unused:UNUSED_PAD src0_sel:WORD_0 src1_sel:DWORD
	s_lshl_b64 s[20:21], s[20:21], 3
	v_mul_u32_u24_sdwa v11, v15, v9 dst_sel:DWORD dst_unused:UNUSED_PAD src0_sel:WORD_0 src1_sel:DWORD
	v_mul_u32_u24_sdwa v17, v16, v9 dst_sel:DWORD dst_unused:UNUSED_PAD src0_sel:WORD_0 src1_sel:DWORD
	v_lshrrev_b32_e32 v34, 16, v2
	v_mul_u32_u24_sdwa v2, v3, v9 dst_sel:DWORD dst_unused:UNUSED_PAD src0_sel:WORD_0 src1_sel:DWORD
	v_lshrrev_b32_e32 v35, 16, v4
	v_lshrrev_b32_e32 v40, 16, v11
	s_add_u32 s7, s18, s20
	v_mul_lo_u16 v4, 0xa9, v34
	v_lshrrev_b32_e32 v36, 16, v2
	v_mul_lo_u16 v5, 0xa9, v35
	v_mov_b32_e32 v2, 0
	s_addc_u32 s11, s19, s21
	v_sub_nc_u16 v37, v0, v4
	v_mul_lo_u16 v4, 0xa9, v36
	v_sub_nc_u16 v38, v1, v5
	v_mul_lo_u32 v1, s16, v34
	v_lshrrev_b32_e32 v41, 16, v17
	v_and_b32_e32 v10, 0xffff, v37
	v_sub_nc_u16 v39, v3, v4
	v_and_b32_e32 v12, 0xffff, v38
	v_mov_b32_e32 v27, 0xc1f
	v_add_nc_u16 v18, v0, 0x3a8
	v_mad_u64_u32 v[3:4], null, s12, v10, 0
	v_and_b32_e32 v14, 0xffff, v39
	v_mad_u64_u32 v[5:6], null, s12, v12, 0
	v_add_nc_u16 v21, v0, 0x444
	v_add_nc_u16 v23, v0, 0x4e0
	v_mad_u64_u32 v[7:8], null, s12, v14, 0
	v_add_nc_u16 v29, v0, 0x6b4
	v_add_nc_u16 v31, v0, 0x750
	v_mad_u64_u32 v[9:10], null, s13, v10, v[4:5]
	v_lshlrev_b64 v[10:11], 3, v[1:2]
	v_mul_lo_u32 v1, s16, v35
	v_mov_b32_e32 v4, v8
	v_mad_u64_u32 v[12:13], null, s13, v12, v[6:7]
	v_mul_lo_u16 v8, 0xa9, v40
	v_mul_u32_u24_sdwa v24, v23, v27 dst_sel:DWORD dst_unused:UNUSED_PAD src0_sel:WORD_0 src1_sel:DWORD
	v_mad_u64_u32 v[13:14], null, s13, v14, v[4:5]
	v_mov_b32_e32 v4, v9
	v_sub_nc_u16 v42, v15, v8
	v_mov_b32_e32 v6, v12
	v_lshlrev_b64 v[14:15], 3, v[1:2]
	v_lshrrev_b32_e32 v50, 19, v24
	v_lshlrev_b64 v[3:4], 3, v[3:4]
	v_and_b32_e32 v12, 0xffff, v42
	v_lshlrev_b64 v[5:6], 3, v[5:6]
	v_mov_b32_e32 v8, v13
	v_add_nc_u16 v24, v0, 0x57c
	v_add_co_u32 v1, vcc_lo, s7, v3
	v_add_co_ci_u32_e32 v4, vcc_lo, s11, v4, vcc_lo
	v_add_co_u32 v5, vcc_lo, s7, v5
	v_add_co_ci_u32_e32 v6, vcc_lo, s11, v6, vcc_lo
	v_add_co_u32 v3, vcc_lo, v1, v10
	v_mad_u64_u32 v[9:10], null, s12, v12, 0
	v_lshlrev_b64 v[7:8], 3, v[7:8]
	v_add_co_ci_u32_e32 v4, vcc_lo, v4, v11, vcc_lo
	v_mul_lo_u16 v11, 0xa9, v41
	v_add_co_u32 v5, vcc_lo, v5, v14
	v_add_co_ci_u32_e32 v6, vcc_lo, v6, v15, vcc_lo
	v_mul_lo_u32 v1, s16, v36
	v_add_co_u32 v14, vcc_lo, s7, v7
	v_mov_b32_e32 v7, v10
	v_sub_nc_u16 v43, v16, v11
	v_add_co_ci_u32_e32 v15, vcc_lo, s11, v8, vcc_lo
	v_add_nc_u16 v16, v0, 0x30c
	v_mad_u64_u32 v[7:8], null, s13, v12, v[7:8]
	v_and_b32_e32 v17, 0xffff, v43
	v_lshlrev_b64 v[10:11], 3, v[1:2]
	v_mul_u32_u24_sdwa v1, v16, v27 dst_sel:DWORD dst_unused:UNUSED_PAD src0_sel:WORD_0 src1_sel:DWORD
	v_mad_u64_u32 v[12:13], null, s12, v17, 0
	v_add_co_u32 v14, vcc_lo, v14, v10
	v_mov_b32_e32 v10, v7
	v_lshrrev_b32_e32 v44, 19, v1
	v_add_co_ci_u32_e32 v15, vcc_lo, v15, v11, vcc_lo
	v_mov_b32_e32 v7, v13
	v_lshlrev_b64 v[8:9], 3, v[9:10]
	v_mul_lo_u16 v13, 0xa9, v44
	v_mul_lo_u32 v1, s16, v40
	v_mad_u64_u32 v[10:11], null, s13, v17, v[7:8]
	v_mul_u32_u24_sdwa v11, v18, v27 dst_sel:DWORD dst_unused:UNUSED_PAD src0_sel:WORD_0 src1_sel:DWORD
	v_sub_nc_u16 v45, v16, v13
	v_add_co_u32 v16, vcc_lo, s7, v8
	v_lshlrev_b64 v[7:8], 3, v[1:2]
	v_lshrrev_b32_e32 v46, 19, v11
	v_and_b32_e32 v19, 0xffff, v45
	v_mov_b32_e32 v13, v10
	v_mul_lo_u32 v1, s16, v41
	v_add_co_ci_u32_e32 v17, vcc_lo, s11, v9, vcc_lo
	v_mul_lo_u16 v11, 0xa9, v46
	v_mad_u64_u32 v[9:10], null, s12, v19, 0
	v_add_co_u32 v7, vcc_lo, v16, v7
	v_sub_nc_u16 v47, v18, v11
	v_lshlrev_b64 v[11:12], 3, v[12:13]
	v_add_co_ci_u32_e32 v8, vcc_lo, v17, v8, vcc_lo
	v_lshlrev_b64 v[16:17], 3, v[1:2]
	v_mul_u32_u24_sdwa v1, v21, v27 dst_sel:DWORD dst_unused:UNUSED_PAD src0_sel:WORD_0 src1_sel:DWORD
	v_and_b32_e32 v22, 0xffff, v47
	v_mad_u64_u32 v[18:19], null, s13, v19, v[10:11]
	v_lshrrev_b32_e32 v48, 19, v1
	v_mad_u64_u32 v[19:20], null, s12, v22, 0
	v_add_co_u32 v1, vcc_lo, s7, v11
	v_mov_b32_e32 v10, v18
	v_mul_lo_u16 v18, 0xa9, v48
	v_add_co_ci_u32_e32 v12, vcc_lo, s11, v12, vcc_lo
	v_add_co_u32 v11, vcc_lo, v1, v16
	v_sub_nc_u16 v49, v21, v18
	v_mov_b32_e32 v13, v20
	v_mul_lo_u32 v1, s16, v44
	v_lshlrev_b64 v[9:10], 3, v[9:10]
	v_add_co_ci_u32_e32 v12, vcc_lo, v12, v17, vcc_lo
	v_and_b32_e32 v21, 0xffff, v49
	v_mad_u64_u32 v[16:17], null, s13, v22, v[13:14]
	v_add_co_u32 v13, vcc_lo, s7, v9
	v_mad_u64_u32 v[17:18], null, s12, v21, 0
	v_add_co_ci_u32_e32 v22, vcc_lo, s11, v10, vcc_lo
	v_lshlrev_b64 v[9:10], 3, v[1:2]
	v_mul_lo_u32 v1, s16, v46
	v_mov_b32_e32 v20, v16
	v_mul_lo_u16 v16, 0xa9, v50
	v_add_co_u32 v9, vcc_lo, v13, v9
	v_mov_b32_e32 v13, v18
	v_lshlrev_b64 v[18:19], 3, v[19:20]
	v_add_co_ci_u32_e32 v10, vcc_lo, v22, v10, vcc_lo
	v_sub_nc_u16 v51, v23, v16
	v_mad_u64_u32 v[20:21], null, s13, v21, v[13:14]
	v_lshlrev_b64 v[21:22], 3, v[1:2]
	v_mul_u32_u24_sdwa v1, v24, v27 dst_sel:DWORD dst_unused:UNUSED_PAD src0_sel:WORD_0 src1_sel:DWORD
	v_add_co_u32 v13, vcc_lo, s7, v18
	v_add_co_ci_u32_e32 v16, vcc_lo, s11, v19, vcc_lo
	v_lshrrev_b32_e32 v52, 19, v1
	v_and_b32_e32 v23, 0xffff, v51
	v_add_co_u32 v19, vcc_lo, v13, v21
	v_mov_b32_e32 v18, v20
	v_mul_lo_u16 v13, 0xa9, v52
	v_add_co_ci_u32_e32 v20, vcc_lo, v16, v22, vcc_lo
	v_mad_u64_u32 v[21:22], null, s12, v23, 0
	v_sub_nc_u16 v53, v24, v13
	v_lshlrev_b64 v[16:17], 3, v[17:18]
	v_mul_lo_u32 v1, s16, v48
	v_add_nc_u16 v18, v0, 0x618
	v_and_b32_e32 v28, 0xffff, v53
	v_mov_b32_e32 v13, v22
	v_add_co_u32 v25, vcc_lo, s7, v16
	v_add_co_ci_u32_e32 v26, vcc_lo, s11, v17, vcc_lo
	v_lshlrev_b64 v[16:17], 3, v[1:2]
	v_mul_u32_u24_sdwa v1, v18, v27 dst_sel:DWORD dst_unused:UNUSED_PAD src0_sel:WORD_0 src1_sel:DWORD
	v_mad_u64_u32 v[22:23], null, s13, v23, v[13:14]
	v_mad_u64_u32 v[23:24], null, s12, v28, 0
	v_lshrrev_b32_e32 v54, 19, v1
	v_add_co_u32 v16, vcc_lo, v25, v16
	v_add_co_ci_u32_e32 v17, vcc_lo, v26, v17, vcc_lo
	v_mul_lo_u16 v26, 0xa9, v54
	v_mov_b32_e32 v13, v24
	v_mul_lo_u32 v1, s16, v50
	v_lshlrev_b64 v[21:22], 3, v[21:22]
	v_sub_nc_u16 v55, v18, v26
	v_mad_u64_u32 v[24:25], null, s13, v28, v[13:14]
	v_mul_u32_u24_sdwa v13, v29, v27 dst_sel:DWORD dst_unused:UNUSED_PAD src0_sel:WORD_0 src1_sel:DWORD
	v_add_co_u32 v18, vcc_lo, s7, v21
	v_and_b32_e32 v30, 0xffff, v55
	v_mul_u32_u24_sdwa v27, v31, v27 dst_sel:DWORD dst_unused:UNUSED_PAD src0_sel:WORD_0 src1_sel:DWORD
	v_lshrrev_b32_e32 v56, 19, v13
	v_add_co_ci_u32_e32 v28, vcc_lo, s11, v22, vcc_lo
	v_mad_u64_u32 v[25:26], null, s12, v30, 0
	v_mul_lo_u16 v13, 0xa9, v56
	v_lshlrev_b64 v[21:22], 3, v[1:2]
	v_mul_lo_u32 v1, s16, v52
	v_lshrrev_b32_e32 v58, 19, v27
	v_lshlrev_b64 v[23:24], 3, v[23:24]
	v_sub_nc_u16 v57, v29, v13
	v_mov_b32_e32 v13, v26
	v_add_co_u32 v21, vcc_lo, v18, v21
	v_add_co_ci_u32_e32 v22, vcc_lo, v28, v22, vcc_lo
	v_and_b32_e32 v18, 0xffff, v57
	v_lshlrev_b64 v[26:27], 3, v[1:2]
	v_mul_lo_u16 v1, 0xa9, v58
	v_mad_u64_u32 v[28:29], null, s13, v30, v[13:14]
	v_mad_u64_u32 v[29:30], null, s12, v18, 0
	v_sub_nc_u16 v59, v31, v1
	v_add_co_u32 v1, vcc_lo, s7, v23
	v_add_co_ci_u32_e32 v13, vcc_lo, s11, v24, vcc_lo
	v_and_b32_e32 v32, 0xffff, v59
	v_add_co_u32 v23, vcc_lo, v1, v26
	v_mov_b32_e32 v1, v30
	v_add_co_ci_u32_e32 v24, vcc_lo, v13, v27, vcc_lo
	s_clause 0x3
	global_load_dwordx2 v[3:4], v[3:4], off
	global_load_dwordx2 v[5:6], v[5:6], off
	;; [unrolled: 1-line block ×4, first 2 shown]
	v_mov_b32_e32 v26, v28
	v_mad_u64_u32 v[30:31], null, s13, v18, v[1:2]
	s_clause 0x3
	global_load_dwordx2 v[11:12], v[11:12], off
	global_load_dwordx2 v[9:10], v[9:10], off
	;; [unrolled: 1-line block ×4, first 2 shown]
	v_mad_u64_u32 v[27:28], null, s12, v32, 0
	v_mul_lo_u32 v1, s16, v54
	v_lshlrev_b64 v[25:26], 3, v[25:26]
	v_mov_b32_e32 v15, v28
	s_waitcnt vmcnt(0)
	v_mad_u64_u32 v[31:32], null, s13, v32, v[15:16]
	v_lshlrev_b64 v[32:33], 3, v[1:2]
	v_mul_lo_u32 v1, s16, v56
	v_add_co_u32 v15, vcc_lo, s7, v25
	v_add_co_ci_u32_e32 v20, vcc_lo, s11, v26, vcc_lo
	v_mov_b32_e32 v28, v31
	v_lshlrev_b64 v[25:26], 3, v[29:30]
	v_add_co_u32 v29, vcc_lo, v15, v32
	v_lshlrev_b64 v[31:32], 3, v[1:2]
	v_mul_lo_u32 v1, s16, v58
	v_lshlrev_b64 v[27:28], 3, v[27:28]
	v_add_co_ci_u32_e32 v30, vcc_lo, v20, v33, vcc_lo
	v_add_co_u32 v15, vcc_lo, s7, v25
	v_add_co_ci_u32_e32 v20, vcc_lo, s11, v26, vcc_lo
	v_add_co_u32 v27, vcc_lo, s7, v27
	v_lshlrev_b64 v[1:2], 3, v[1:2]
	v_add_co_ci_u32_e32 v28, vcc_lo, s11, v28, vcc_lo
	v_add_co_u32 v25, vcc_lo, v15, v31
	v_add_co_ci_u32_e32 v26, vcc_lo, v20, v32, vcc_lo
	v_add_co_u32 v1, vcc_lo, v27, v1
	v_add_co_ci_u32_e32 v2, vcc_lo, v28, v2, vcc_lo
	s_clause 0x4
	global_load_dwordx2 v[20:21], v[21:22], off
	global_load_dwordx2 v[22:23], v[23:24], off
	;; [unrolled: 1-line block ×5, first 2 shown]
	v_mul_lo_u16 v15, v37, 12
	v_mul_lo_u16 v26, v38, 12
	v_mad_u16 v29, v39, 12, v36
	v_or_b32_e32 v15, v15, v34
	v_or_b32_e32 v26, v26, v35
	v_and_b32_e32 v29, 0xffff, v29
	v_and_b32_e32 v15, 0xffff, v15
	;; [unrolled: 1-line block ×3, first 2 shown]
	v_lshl_add_u32 v29, v29, 3, 0
	v_lshl_add_u32 v15, v15, 3, 0
	;; [unrolled: 1-line block ×3, first 2 shown]
	ds_write_b64 v15, v[3:4]
	ds_write_b64 v26, v[5:6]
	;; [unrolled: 1-line block ×3, first 2 shown]
	v_mad_u16 v3, v42, 12, v40
	v_mad_u16 v4, v43, 12, v41
	;; [unrolled: 1-line block ×5, first 2 shown]
	v_and_b32_e32 v3, 0xffff, v3
	v_and_b32_e32 v4, 0xffff, v4
	;; [unrolled: 1-line block ×5, first 2 shown]
	v_lshl_add_u32 v3, v3, 3, 0
	v_lshl_add_u32 v4, v4, 3, 0
	;; [unrolled: 1-line block ×5, first 2 shown]
	ds_write_b64 v3, v[7:8]
	ds_write_b64 v4, v[11:12]
	;; [unrolled: 1-line block ×5, first 2 shown]
	v_mad_u16 v3, v51, 12, v50
	v_mad_u16 v4, v53, 12, v52
	;; [unrolled: 1-line block ×5, first 2 shown]
	v_and_b32_e32 v3, 0xffff, v3
	v_and_b32_e32 v4, 0xffff, v4
	;; [unrolled: 1-line block ×5, first 2 shown]
	v_lshl_add_u32 v3, v3, 3, 0
	v_lshl_add_u32 v4, v4, 3, 0
	;; [unrolled: 1-line block ×5, first 2 shown]
	s_waitcnt vmcnt(4)
	ds_write_b64 v3, v[20:21]
	s_waitcnt vmcnt(3)
	ds_write_b64 v4, v[22:23]
	;; [unrolled: 2-line block ×5, first 2 shown]
.LBB0_10:
	v_mov_b32_e32 v1, 0x1556
	v_mul_hi_u32 v18, 0x15555556, v0
	s_waitcnt lgkmcnt(0)
	s_barrier
	buffer_gl0_inv
	v_mul_u32_u24_sdwa v1, v0, v1 dst_sel:DWORD dst_unused:UNUSED_PAD src0_sel:WORD_0 src1_sel:DWORD
	s_mov_b32 s7, 0
	v_lshrrev_b32_e32 v1, 16, v1
	v_mul_lo_u16 v1, v1, 12
	v_sub_nc_u16 v1, v0, v1
	v_and_b32_e32 v15, 0xffff, v1
	v_mul_u32_u24_e32 v1, 0x60, v18
	v_lshlrev_b32_e32 v2, 3, v15
	v_add3_u32 v16, 0, v1, v2
	ds_read2_b64 v[19:22], v16 offset1:156
	v_add_nc_u32_e32 v17, 0x800, v16
	v_add_nc_u32_e32 v1, 0x1200, v16
	;; [unrolled: 1-line block ×3, first 2 shown]
	ds_read_b64 v[13:14], v16 offset:14976
	ds_read2_b64 v[23:26], v17 offset0:56 offset1:212
	v_add_nc_u32_e32 v9, 0x2400, v16
	v_add_nc_u32_e32 v27, 0x3000, v16
	ds_read2_b64 v[5:8], v1 offset0:48 offset1:204
	ds_read2_b64 v[1:4], v2 offset0:40 offset1:196
	;; [unrolled: 1-line block ×4, first 2 shown]
	s_waitcnt lgkmcnt(0)
	s_barrier
	buffer_gl0_inv
	v_add_f32_e32 v32, v20, v22
	v_add_f32_e32 v31, v19, v21
	;; [unrolled: 1-line block ×5, first 2 shown]
	v_sub_f32_e32 v34, v22, v14
	v_sub_f32_e32 v21, v21, v13
	v_add_f32_e32 v22, v14, v22
	v_add_f32_e32 v32, v32, v26
	v_add_f32_e32 v31, v31, v25
	v_mul_f32_e32 v35, 0xbeedf032, v34
	v_mul_f32_e32 v36, 0xbeedf032, v21
	v_mul_f32_e32 v37, 0xbf52af12, v34
	v_add_f32_e32 v32, v32, v6
	v_add_f32_e32 v31, v31, v5
	v_mul_f32_e32 v38, 0xbf52af12, v21
	v_mul_f32_e32 v39, 0xbf7e222b, v34
	v_mul_f32_e32 v40, 0xbf7e222b, v21
	v_add_f32_e32 v32, v32, v8
	v_add_f32_e32 v31, v31, v7
	;; [unrolled: 5-line block ×4, first 2 shown]
	v_sub_f32_e32 v46, v24, v30
	v_add_f32_e32 v45, v29, v23
	v_sub_f32_e32 v23, v23, v29
	v_add_f32_e32 v32, v32, v10
	v_add_f32_e32 v31, v31, v9
	;; [unrolled: 1-line block ×3, first 2 shown]
	v_fma_f32 v47, 0x3f62ad3f, v33, -v35
	v_fmamk_f32 v48, v22, 0x3f62ad3f, v36
	v_add_f32_e32 v32, v32, v12
	v_add_f32_e32 v31, v31, v11
	v_fmac_f32_e32 v35, 0x3f62ad3f, v33
	v_fma_f32 v36, 0x3f62ad3f, v22, -v36
	v_fma_f32 v49, 0x3f116cb1, v33, -v37
	v_add_f32_e32 v32, v32, v28
	v_fmamk_f32 v50, v22, 0x3f116cb1, v38
	v_fmac_f32_e32 v37, 0x3f116cb1, v33
	v_fma_f32 v38, 0x3f116cb1, v22, -v38
	v_fma_f32 v51, 0x3df6dbef, v33, -v39
	v_fmamk_f32 v52, v22, 0x3df6dbef, v40
	v_fmac_f32_e32 v39, 0x3df6dbef, v33
	v_fma_f32 v40, 0x3df6dbef, v22, -v40
	v_fma_f32 v53, 0xbeb58ec6, v33, -v41
	;; [unrolled: 4-line block ×4, first 2 shown]
	v_fmamk_f32 v58, v22, 0xbf788fa5, v21
	v_fmac_f32_e32 v34, 0xbf788fa5, v33
	v_fma_f32 v21, 0xbf788fa5, v22, -v21
	v_mul_f32_e32 v22, 0xbf52af12, v46
	v_add_f32_e32 v31, v31, v27
	v_add_f32_e32 v30, v32, v30
	v_mul_f32_e32 v33, 0xbf52af12, v23
	v_add_f32_e32 v47, v19, v47
	v_add_f32_e32 v35, v19, v35
	;; [unrolled: 1-line block ×13, first 2 shown]
	v_fma_f32 v30, 0x3f116cb1, v45, -v22
	v_add_f32_e32 v19, v19, v34
	v_mul_f32_e32 v34, 0xbf6f5d39, v46
	v_add_f32_e32 v48, v20, v48
	v_add_f32_e32 v36, v20, v36
	;; [unrolled: 1-line block ×13, first 2 shown]
	v_fmamk_f32 v21, v24, 0x3f116cb1, v33
	v_add_f32_e32 v30, v30, v47
	v_fmac_f32_e32 v22, 0x3f116cb1, v45
	v_mul_f32_e32 v44, 0xbf6f5d39, v23
	v_fma_f32 v33, 0x3f116cb1, v24, -v33
	v_fma_f32 v47, 0xbeb58ec6, v45, -v34
	v_add_f32_e32 v21, v21, v48
	v_add_f32_e32 v22, v22, v35
	v_fmamk_f32 v35, v24, 0xbeb58ec6, v44
	v_add_f32_e32 v33, v33, v36
	v_add_f32_e32 v36, v47, v49
	v_mul_f32_e32 v47, 0xbe750f2a, v46
	v_fmac_f32_e32 v34, 0xbeb58ec6, v45
	v_fma_f32 v44, 0xbeb58ec6, v24, -v44
	v_mul_f32_e32 v48, 0xbe750f2a, v23
	v_add_f32_e32 v35, v35, v50
	v_fma_f32 v49, 0xbf788fa5, v45, -v47
	v_add_f32_e32 v34, v34, v37
	v_add_f32_e32 v37, v44, v38
	v_fmamk_f32 v38, v24, 0xbf788fa5, v48
	v_mul_f32_e32 v44, 0x3f29c268, v46
	v_mul_f32_e32 v50, 0x3f29c268, v23
	v_fma_f32 v48, 0xbf788fa5, v24, -v48
	v_add_f32_e32 v49, v49, v51
	v_fmac_f32_e32 v47, 0xbf788fa5, v45
	v_fma_f32 v51, 0xbf3f9e67, v45, -v44
	v_add_f32_e32 v38, v38, v52
	v_fmamk_f32 v52, v24, 0xbf3f9e67, v50
	v_add_f32_e32 v40, v48, v40
	v_mul_f32_e32 v48, 0x3f7e222b, v46
	v_add_f32_e32 v39, v47, v39
	v_add_f32_e32 v47, v51, v53
	v_add_f32_e32 v51, v52, v54
	v_fmac_f32_e32 v44, 0xbf3f9e67, v45
	v_mul_f32_e32 v52, 0x3f7e222b, v23
	v_fma_f32 v50, 0xbf3f9e67, v24, -v50
	v_fma_f32 v53, 0x3df6dbef, v45, -v48
	v_mul_f32_e32 v46, 0x3eedf032, v46
	v_fmac_f32_e32 v48, 0x3df6dbef, v45
	v_add_f32_e32 v41, v44, v41
	v_fmamk_f32 v44, v24, 0x3df6dbef, v52
	v_add_f32_e32 v42, v50, v42
	v_add_f32_e32 v50, v53, v55
	v_fma_f32 v52, 0x3df6dbef, v24, -v52
	v_fma_f32 v53, 0x3f62ad3f, v45, -v46
	v_add_f32_e32 v31, v48, v31
	v_sub_f32_e32 v48, v26, v28
	v_mul_f32_e32 v23, 0x3eedf032, v23
	v_add_f32_e32 v32, v52, v32
	v_add_f32_e32 v43, v53, v43
	;; [unrolled: 1-line block ×3, first 2 shown]
	v_mul_f32_e32 v53, 0xbf7e222b, v48
	v_sub_f32_e32 v25, v25, v27
	v_fmamk_f32 v54, v24, 0x3f62ad3f, v23
	v_fma_f32 v23, 0x3f62ad3f, v24, -v23
	v_add_f32_e32 v26, v28, v26
	v_fma_f32 v24, 0x3df6dbef, v52, -v53
	v_mul_f32_e32 v27, 0xbf7e222b, v25
	v_fmac_f32_e32 v46, 0x3f62ad3f, v45
	v_add_f32_e32 v20, v23, v20
	v_add_f32_e32 v44, v44, v56
	;; [unrolled: 1-line block ×3, first 2 shown]
	v_mul_f32_e32 v24, 0xbe750f2a, v48
	v_fmamk_f32 v28, v26, 0x3df6dbef, v27
	v_mul_f32_e32 v30, 0xbe750f2a, v25
	v_fma_f32 v27, 0x3df6dbef, v26, -v27
	v_add_f32_e32 v19, v46, v19
	v_fma_f32 v45, 0xbf788fa5, v52, -v24
	v_add_f32_e32 v21, v28, v21
	v_fmamk_f32 v28, v26, 0xbf788fa5, v30
	v_fmac_f32_e32 v24, 0xbf788fa5, v52
	v_add_f32_e32 v27, v27, v33
	v_add_f32_e32 v33, v45, v36
	v_mul_f32_e32 v36, 0x3f6f5d39, v48
	v_fma_f32 v30, 0xbf788fa5, v26, -v30
	v_add_f32_e32 v28, v28, v35
	v_mul_f32_e32 v35, 0x3f6f5d39, v25
	v_add_f32_e32 v24, v24, v34
	v_mul_f32_e32 v34, 0x3eedf032, v48
	v_fma_f32 v45, 0xbeb58ec6, v52, -v36
	v_add_f32_e32 v30, v30, v37
	v_fmamk_f32 v37, v26, 0xbeb58ec6, v35
	v_fmac_f32_e32 v36, 0xbeb58ec6, v52
	v_fma_f32 v35, 0xbeb58ec6, v26, -v35
	v_fma_f32 v46, 0x3f62ad3f, v52, -v34
	v_fmac_f32_e32 v34, 0x3f62ad3f, v52
	v_add_f32_e32 v45, v45, v49
	v_add_f32_e32 v36, v36, v39
	;; [unrolled: 1-line block ×4, first 2 shown]
	v_mul_f32_e32 v40, 0xbf52af12, v48
	v_mul_f32_e32 v47, 0xbf52af12, v25
	v_add_f32_e32 v34, v34, v41
	v_mul_f32_e32 v48, 0xbf29c268, v48
	v_add_f32_e32 v37, v37, v38
	v_fma_f32 v49, 0x3f116cb1, v52, -v40
	v_fmamk_f32 v41, v26, 0x3f116cb1, v47
	v_fmac_f32_e32 v40, 0x3f116cb1, v52
	v_mul_f32_e32 v38, 0x3eedf032, v25
	v_mul_f32_e32 v25, 0xbf29c268, v25
	v_fmac_f32_e32 v53, 0x3df6dbef, v52
	v_add_f32_e32 v41, v41, v44
	v_fma_f32 v44, 0x3f116cb1, v26, -v47
	v_fma_f32 v47, 0xbf3f9e67, v52, -v48
	v_add_f32_e32 v31, v40, v31
	v_sub_f32_e32 v40, v6, v12
	v_fmamk_f32 v46, v26, 0x3f62ad3f, v38
	v_fma_f32 v38, 0x3f62ad3f, v26, -v38
	v_add_f32_e32 v32, v44, v32
	v_add_f32_e32 v43, v47, v43
	;; [unrolled: 1-line block ×3, first 2 shown]
	v_mul_f32_e32 v47, 0xbf6f5d39, v40
	v_add_f32_e32 v38, v38, v42
	v_add_f32_e32 v42, v49, v50
	v_fmamk_f32 v49, v26, 0xbf3f9e67, v25
	v_sub_f32_e32 v5, v5, v11
	v_fma_f32 v11, 0xbf3f9e67, v26, -v25
	v_fma_f32 v25, 0xbeb58ec6, v44, -v47
	v_fmac_f32_e32 v48, 0xbf3f9e67, v52
	v_add_f32_e32 v6, v12, v6
	v_mul_f32_e32 v12, 0xbf6f5d39, v5
	v_add_f32_e32 v11, v11, v20
	v_add_f32_e32 v20, v25, v23
	v_mul_f32_e32 v23, 0x3f29c268, v40
	v_add_f32_e32 v19, v48, v19
	v_fmamk_f32 v25, v6, 0xbeb58ec6, v12
	v_fma_f32 v12, 0xbeb58ec6, v6, -v12
	v_mul_f32_e32 v26, 0x3f29c268, v5
	v_fma_f32 v48, 0xbf3f9e67, v44, -v23
	v_add_f32_e32 v22, v53, v22
	v_fmac_f32_e32 v47, 0xbeb58ec6, v44
	v_add_f32_e32 v21, v25, v21
	v_add_f32_e32 v12, v12, v27
	v_fmamk_f32 v25, v6, 0xbf3f9e67, v26
	v_add_f32_e32 v27, v48, v33
	v_mul_f32_e32 v33, 0x3eedf032, v40
	v_fmac_f32_e32 v23, 0xbf3f9e67, v44
	v_fma_f32 v26, 0xbf3f9e67, v6, -v26
	v_add_f32_e32 v22, v47, v22
	v_add_f32_e32 v25, v25, v28
	v_mul_f32_e32 v28, 0x3eedf032, v5
	v_fma_f32 v47, 0x3f62ad3f, v44, -v33
	v_add_f32_e32 v23, v23, v24
	v_add_f32_e32 v24, v26, v30
	v_mul_f32_e32 v26, 0xbf7e222b, v40
	v_fmamk_f32 v30, v6, 0x3f62ad3f, v28
	v_add_f32_e32 v45, v47, v45
	v_fmac_f32_e32 v33, 0x3f62ad3f, v44
	v_fma_f32 v28, 0x3f62ad3f, v6, -v28
	v_fma_f32 v47, 0x3df6dbef, v44, -v26
	v_add_f32_e32 v30, v30, v37
	v_mul_f32_e32 v37, 0xbf7e222b, v5
	v_add_f32_e32 v33, v33, v36
	v_add_f32_e32 v28, v28, v35
	;; [unrolled: 1-line block ×3, first 2 shown]
	v_mul_f32_e32 v36, 0x3e750f2a, v40
	v_fmac_f32_e32 v26, 0x3df6dbef, v44
	v_mul_f32_e32 v47, 0x3e750f2a, v5
	v_fmamk_f32 v39, v6, 0x3df6dbef, v37
	v_fma_f32 v37, 0x3df6dbef, v6, -v37
	v_fma_f32 v48, 0xbf788fa5, v44, -v36
	v_add_f32_e32 v26, v26, v34
	v_fmamk_f32 v34, v6, 0xbf788fa5, v47
	v_mul_f32_e32 v40, 0x3f52af12, v40
	v_fmac_f32_e32 v36, 0xbf788fa5, v44
	v_add_f32_e32 v37, v37, v38
	v_add_f32_e32 v38, v48, v42
	;; [unrolled: 1-line block ×3, first 2 shown]
	v_fma_f32 v41, 0xbf788fa5, v6, -v47
	v_fma_f32 v42, 0x3f116cb1, v44, -v40
	v_add_f32_e32 v31, v36, v31
	v_sub_f32_e32 v36, v8, v10
	v_add_f32_e32 v46, v46, v51
	v_mul_f32_e32 v5, 0x3f52af12, v5
	v_add_f32_e32 v32, v41, v32
	v_add_f32_e32 v41, v42, v43
	;; [unrolled: 1-line block ×3, first 2 shown]
	v_mul_f32_e32 v43, 0xbf29c268, v36
	v_sub_f32_e32 v7, v7, v9
	v_add_f32_e32 v39, v39, v46
	v_fmamk_f32 v46, v6, 0x3f116cb1, v5
	v_fmac_f32_e32 v40, 0x3f116cb1, v44
	v_fma_f32 v5, 0x3f116cb1, v6, -v5
	v_fma_f32 v6, 0xbf3f9e67, v42, -v43
	v_add_f32_e32 v8, v10, v8
	v_mul_f32_e32 v9, 0xbf29c268, v7
	v_add_f32_e32 v10, v40, v19
	v_add_f32_e32 v5, v5, v11
	;; [unrolled: 1-line block ×3, first 2 shown]
	v_mul_f32_e32 v11, 0x3f7e222b, v36
	v_fmamk_f32 v19, v8, 0xbf3f9e67, v9
	v_fma_f32 v9, 0xbf3f9e67, v8, -v9
	v_mul_f32_e32 v20, 0x3f7e222b, v7
	v_fmac_f32_e32 v43, 0xbf3f9e67, v42
	v_fma_f32 v40, 0x3df6dbef, v42, -v11
	v_fmac_f32_e32 v11, 0x3df6dbef, v42
	v_add_f32_e32 v9, v9, v12
	v_fmamk_f32 v12, v8, 0x3df6dbef, v20
	v_add_f32_e32 v19, v19, v21
	v_add_f32_e32 v21, v43, v22
	;; [unrolled: 1-line block ×3, first 2 shown]
	v_mul_f32_e32 v27, 0xbf52af12, v36
	v_fma_f32 v20, 0x3df6dbef, v8, -v20
	v_add_f32_e32 v12, v12, v25
	v_mul_f32_e32 v25, 0xbf52af12, v7
	v_add_f32_e32 v11, v11, v23
	v_mul_f32_e32 v23, 0x3e750f2a, v36
	v_fma_f32 v40, 0x3f116cb1, v42, -v27
	v_add_f32_e32 v20, v20, v24
	v_fmamk_f32 v24, v8, 0x3f116cb1, v25
	v_fmac_f32_e32 v27, 0x3f116cb1, v42
	v_fma_f32 v25, 0x3f116cb1, v8, -v25
	v_fma_f32 v43, 0xbf788fa5, v42, -v23
	v_add_f32_e32 v29, v54, v29
	v_add_f32_e32 v24, v24, v30
	v_mul_f32_e32 v30, 0x3e750f2a, v7
	v_add_f32_e32 v27, v27, v33
	v_add_f32_e32 v25, v25, v28
	;; [unrolled: 1-line block ×3, first 2 shown]
	v_mul_f32_e32 v33, 0x3eedf032, v36
	v_fmac_f32_e32 v23, 0xbf788fa5, v42
	v_mul_f32_e32 v43, 0x3eedf032, v7
	v_add_f32_e32 v29, v49, v29
	v_fmamk_f32 v35, v8, 0xbf788fa5, v30
	v_fma_f32 v30, 0xbf788fa5, v8, -v30
	v_fma_f32 v44, 0x3f62ad3f, v42, -v33
	v_add_f32_e32 v23, v23, v26
	v_fmamk_f32 v26, v8, 0x3f62ad3f, v43
	v_mul_f32_e32 v36, 0xbf6f5d39, v36
	v_fmac_f32_e32 v33, 0x3f62ad3f, v42
	v_mul_f32_e32 v7, 0xbf6f5d39, v7
	v_add_f32_e32 v29, v46, v29
	v_add_f32_e32 v35, v35, v39
	;; [unrolled: 1-line block ×5, first 2 shown]
	v_fma_f32 v34, 0x3f62ad3f, v8, -v43
	v_fma_f32 v38, 0xbeb58ec6, v42, -v36
	v_add_f32_e32 v31, v33, v31
	v_sub_f32_e32 v33, v2, v4
	v_fmamk_f32 v39, v8, 0xbeb58ec6, v7
	v_add_f32_e32 v32, v34, v32
	v_add_f32_e32 v34, v38, v41
	;; [unrolled: 1-line block ×3, first 2 shown]
	v_mul_f32_e32 v41, 0xbe750f2a, v33
	v_add_f32_e32 v29, v39, v29
	v_sub_f32_e32 v39, v1, v3
	v_fmac_f32_e32 v36, 0xbeb58ec6, v42
	v_fma_f32 v1, 0xbeb58ec6, v8, -v7
	v_fma_f32 v3, 0xbf788fa5, v38, -v41
	v_add_f32_e32 v42, v4, v2
	v_mul_f32_e32 v2, 0xbe750f2a, v39
	v_mul_f32_e32 v7, 0x3eedf032, v33
	v_add_f32_e32 v43, v1, v5
	v_add_f32_e32 v1, v3, v6
	v_mul_f32_e32 v6, 0x3eedf032, v39
	v_fmamk_f32 v3, v42, 0xbf788fa5, v2
	v_fma_f32 v4, 0xbf788fa5, v42, -v2
	v_add_f32_e32 v40, v40, v45
	v_add_f32_e32 v36, v36, v10
	v_fmamk_f32 v8, v42, 0x3f62ad3f, v6
	v_add_f32_e32 v2, v3, v19
	v_mul_f32_e32 v19, 0xbf29c268, v33
	v_fmac_f32_e32 v41, 0xbf788fa5, v38
	v_fma_f32 v5, 0x3f62ad3f, v38, -v7
	v_add_f32_e32 v4, v4, v9
	v_fmac_f32_e32 v7, 0x3f62ad3f, v38
	v_fma_f32 v9, 0x3f62ad3f, v42, -v6
	v_add_f32_e32 v6, v8, v12
	v_mul_f32_e32 v10, 0xbf29c268, v39
	v_fma_f32 v12, 0xbf3f9e67, v38, -v19
	v_add_f32_e32 v3, v41, v21
	v_add_f32_e32 v7, v7, v11
	v_add_f32_e32 v8, v9, v20
	v_mul_f32_e32 v21, 0x3f52af12, v33
	v_fmamk_f32 v11, v42, 0xbf3f9e67, v10
	v_add_f32_e32 v9, v12, v40
	v_fmac_f32_e32 v19, 0xbf3f9e67, v38
	v_fma_f32 v12, 0xbf3f9e67, v42, -v10
	v_fma_f32 v20, 0x3f116cb1, v38, -v21
	v_add_f32_e32 v10, v11, v24
	v_fmac_f32_e32 v21, 0x3f116cb1, v38
	v_add_f32_e32 v11, v19, v27
	v_add_f32_e32 v12, v12, v25
	v_mul_f32_e32 v25, 0xbf6f5d39, v33
	v_mul_f32_e32 v27, 0xbf6f5d39, v39
	v_add_f32_e32 v19, v20, v28
	v_add_f32_e32 v5, v5, v22
	v_mul_f32_e32 v22, 0x3f52af12, v39
	v_fma_f32 v24, 0xbeb58ec6, v38, -v25
	v_fmamk_f32 v28, v42, 0xbeb58ec6, v27
	v_add_f32_e32 v21, v21, v23
	v_fmac_f32_e32 v25, 0xbeb58ec6, v38
	v_fmamk_f32 v20, v42, 0x3f116cb1, v22
	v_add_f32_e32 v23, v24, v37
	v_add_f32_e32 v24, v28, v26
	v_fma_f32 v26, 0xbeb58ec6, v42, -v27
	v_fma_f32 v22, 0x3f116cb1, v42, -v22
	v_add_f32_e32 v25, v25, v31
	v_add_f32_e32 v20, v20, v35
	;; [unrolled: 1-line block ×3, first 2 shown]
	v_mad_u32_u24 v32, 0x480, v18, v16
	v_add_f32_e32 v22, v22, v30
	v_mul_f32_e32 v30, 0x3f7e222b, v33
	v_mul_f32_e32 v33, 0x3f7e222b, v39
	ds_write2_b64 v32, v[13:14], v[1:2] offset1:12
	v_add_nc_u32_e32 v1, s24, v15
	v_fma_f32 v27, 0x3df6dbef, v38, -v30
	v_fmamk_f32 v28, v42, 0x3df6dbef, v33
	v_fmac_f32_e32 v30, 0x3df6dbef, v38
	v_fma_f32 v31, 0x3df6dbef, v42, -v33
	v_cmp_gt_u32_e32 vcc_lo, s10, v1
	v_add_f32_e32 v27, v27, v34
	v_add_f32_e32 v28, v28, v29
	v_add_f32_e32 v29, v30, v36
	v_add_f32_e32 v30, v31, v43
	s_or_b32 s3, s3, vcc_lo
	ds_write2_b64 v32, v[5:6], v[9:10] offset0:24 offset1:36
	ds_write2_b64 v32, v[19:20], v[23:24] offset0:48 offset1:60
	;; [unrolled: 1-line block ×5, first 2 shown]
	ds_write_b64 v32, v[3:4] offset:1152
	s_waitcnt lgkmcnt(0)
	s_barrier
	buffer_gl0_inv
	s_and_saveexec_b32 s10, s3
	s_cbranch_execz .LBB0_12
; %bb.11:
	v_mul_hi_u32 v1, 0x13b13b14, v18
	s_load_dwordx2 s[10:11], s[4:5], 0x0
	v_add_nc_u32_e32 v34, 0x2000, v16
	v_add_nc_u32_e32 v38, 0x2a00, v16
	s_load_dwordx2 s[4:5], s[4:5], 0x60
	v_mul_hi_u32 v0, 0x1a41a42, v0
	s_mul_i32 s3, s1, s24
	s_mul_i32 s6, s6, s14
	v_mul_u32_u24_e32 v1, 13, v1
	v_sub_nc_u32_e32 v1, v18, v1
	v_mul_u32_u24_e32 v2, 12, v1
	v_mad_u32_u24 v0, 0xa9, v0, v1
	v_mov_b32_e32 v1, 0
	v_lshlrev_b32_e32 v2, 3, v2
	v_mul_lo_u32 v0, v0, s2
	s_mul_i32 s2, s2, 13
	s_waitcnt lgkmcnt(0)
	s_clause 0x5
	global_load_dwordx4 v[3:6], v2, s[10:11] offset:32
	global_load_dwordx4 v[7:10], v2, s[10:11] offset:48
	;; [unrolled: 1-line block ×4, first 2 shown]
	global_load_dwordx4 v[22:25], v2, s[10:11]
	global_load_dwordx4 v[26:29], v2, s[10:11] offset:80
	v_add_nc_u32_e32 v2, 0x1800, v16
	s_mul_hi_u32 s10, s0, s24
	ds_read2_b64 v[30:33], v2 offset0:12 offset1:168
	ds_read2_b64 v[34:37], v34 offset0:68 offset1:224
	v_add_nc_u32_e32 v2, 0x1000, v16
	s_add_i32 s11, s10, s3
	s_mul_i32 s10, s0, s24
	ds_read2_b32 v[54:55], v2 offset0:224 offset1:225
	ds_read2_b64 v[38:41], v38 offset0:60 offset1:216
	ds_read2_b64 v[42:45], v17 offset0:56 offset1:212
	v_add_nc_u32_e32 v2, 0x3400, v16
	s_mul_i32 s3, s9, s17
	ds_read2_b64 v[46:49], v2 offset0:52 offset1:208
	ds_read2_b64 v[50:53], v16 offset1:156
	s_mul_hi_u32 s9, s8, s17
	s_mul_i32 s8, s8, s17
	s_add_i32 s9, s9, s3
	s_waitcnt vmcnt(5) lgkmcnt(6)
	v_mul_f32_e32 v56, v32, v6
	s_waitcnt vmcnt(4) lgkmcnt(5)
	v_mul_f32_e32 v57, v34, v8
	v_mul_f32_e32 v2, v33, v6
	;; [unrolled: 1-line block ×3, first 2 shown]
	s_waitcnt vmcnt(1) lgkmcnt(2)
	v_mul_f32_e32 v64, v25, v42
	v_mul_f32_e32 v17, v25, v43
	s_waitcnt lgkmcnt(0)
	v_mul_f32_e32 v25, v23, v52
	s_waitcnt vmcnt(0)
	v_mul_f32_e32 v66, v48, v29
	v_mul_f32_e32 v58, v30, v4
	;; [unrolled: 1-line block ×15, first 2 shown]
	v_fmac_f32_e32 v25, v22, v53
	v_fmac_f32_e32 v66, v49, v28
	;; [unrolled: 1-line block ×3, first 2 shown]
	v_fma_f32 v29, v30, v3, -v4
	v_fmac_f32_e32 v57, v35, v7
	v_fma_f32 v30, v34, v7, -v6
	v_fma_f32 v31, v36, v9, -v8
	v_fmac_f32_e32 v64, v24, v43
	v_fmac_f32_e32 v65, v47, v26
	v_fma_f32 v35, v46, v26, -v19
	v_fma_f32 v26, v22, v52, -v21
	;; [unrolled: 1-line block ×3, first 2 shown]
	v_add_f32_e32 v7, v25, v66
	v_mul_f32_e32 v62, v12, v44
	v_fma_f32 v27, v32, v5, -v2
	v_fmac_f32_e32 v61, v39, v18
	v_fma_f32 v24, v24, v42, -v17
	v_add_f32_e32 v6, v64, v65
	v_sub_f32_e32 v39, v26, v36
	v_sub_f32_e32 v8, v25, v66
	v_mul_f32_e32 v2, 0xbf788fa5, v7
	v_mul_f32_e32 v12, v12, v45
	v_fmac_f32_e32 v59, v37, v9
	v_fma_f32 v14, v38, v18, -v14
	v_fmac_f32_e32 v62, v11, v45
	v_fmac_f32_e32 v63, v41, v20
	v_sub_f32_e32 v38, v24, v35
	v_sub_f32_e32 v45, v64, v65
	v_add_f32_e32 v46, v26, v36
	v_mul_f32_e32 v4, 0xbe750f2a, v8
	v_mul_f32_e32 v9, 0x3f62ad3f, v6
	v_fmamk_f32 v82, v39, 0x3e750f2a, v2
	v_fmac_f32_e32 v56, v33, v5
	v_fmac_f32_e32 v60, v55, v13
	v_fma_f32 v32, v13, v54, -v10
	v_fma_f32 v33, v11, v44, -v12
	;; [unrolled: 1-line block ×3, first 2 shown]
	v_add_f32_e32 v23, v62, v63
	v_sub_f32_e32 v43, v62, v63
	v_add_f32_e32 v44, v24, v35
	v_mul_f32_e32 v10, 0x3eedf032, v45
	v_fmamk_f32 v86, v38, 0xbeedf032, v9
	v_add_f32_e32 v82, v82, v51
	v_fmamk_f32 v89, v46, 0xbf788fa5, v4
	v_fmac_f32_e32 v2, 0xbe750f2a, v39
	v_fma_f32 v4, 0xbf788fa5, v46, -v4
	v_add_f32_e32 v22, v60, v61
	v_sub_f32_e32 v37, v33, v34
	v_sub_f32_e32 v41, v60, v61
	v_add_f32_e32 v42, v33, v34
	v_mul_f32_e32 v5, 0xbf3f9e67, v23
	v_mul_f32_e32 v11, 0xbf29c268, v43
	v_add_f32_e32 v82, v86, v82
	v_fmamk_f32 v86, v44, 0x3f62ad3f, v10
	v_add_f32_e32 v89, v89, v50
	v_fmac_f32_e32 v9, 0x3eedf032, v38
	v_add_f32_e32 v2, v2, v51
	v_fma_f32 v10, 0x3f62ad3f, v44, -v10
	v_add_f32_e32 v4, v4, v50
	v_sub_f32_e32 v28, v32, v14
	v_add_f32_e32 v40, v32, v14
	v_add_f32_e32 v47, v58, v59
	v_sub_f32_e32 v49, v58, v59
	v_mul_f32_e32 v3, 0x3f116cb1, v22
	v_mul_f32_e32 v12, 0x3f52af12, v41
	v_add_f32_e32 v86, v86, v89
	v_fmamk_f32 v89, v37, 0x3f29c268, v5
	v_add_f32_e32 v2, v9, v2
	v_add_f32_e32 v4, v10, v4
	v_fmamk_f32 v10, v42, 0xbf3f9e67, v11
	v_fmac_f32_e32 v5, 0xbf29c268, v37
	v_fma_f32 v11, 0xbf3f9e67, v42, -v11
	v_sub_f32_e32 v48, v29, v31
	v_add_f32_e32 v52, v29, v31
	v_add_f32_e32 v53, v56, v57
	v_sub_f32_e32 v55, v56, v57
	v_mul_f32_e32 v13, 0xbeb58ec6, v47
	v_mul_f32_e32 v16, 0xbf6f5d39, v49
	v_add_f32_e32 v82, v89, v82
	v_add_f32_e32 v10, v10, v86
	v_fmamk_f32 v86, v28, 0xbf52af12, v3
	v_add_f32_e32 v2, v5, v2
	v_add_f32_e32 v4, v11, v4
	v_fmamk_f32 v5, v40, 0x3f116cb1, v12
	v_fmac_f32_e32 v3, 0x3f52af12, v28
	v_fma_f32 v12, 0x3f116cb1, v40, -v12
	v_sub_f32_e32 v54, v27, v30
	v_add_f32_e32 v67, v27, v30
	v_mul_f32_e32 v17, 0x3df6dbef, v53
	v_mul_f32_e32 v18, 0x3f7e222b, v55
	v_add_f32_e32 v11, v86, v82
	v_add_f32_e32 v5, v5, v10
	v_fmamk_f32 v10, v48, 0x3f6f5d39, v13
	v_add_f32_e32 v2, v3, v2
	v_add_f32_e32 v3, v12, v4
	v_fmamk_f32 v4, v52, 0xbeb58ec6, v16
	v_fmac_f32_e32 v13, 0xbf6f5d39, v48
	v_fma_f32 v12, 0xbeb58ec6, v52, -v16
	v_mul_f32_e32 v19, 0xbf3f9e67, v7
	v_mul_f32_e32 v21, 0xbf29c268, v8
	v_add_f32_e32 v10, v10, v11
	v_add_f32_e32 v4, v4, v5
	v_fmamk_f32 v5, v54, 0xbf7e222b, v17
	v_add_f32_e32 v13, v13, v2
	v_fmamk_f32 v2, v67, 0x3df6dbef, v18
	v_add_f32_e32 v12, v12, v3
	v_fma_f32 v18, 0x3df6dbef, v67, -v18
	v_mul_f32_e32 v20, 0x3df6dbef, v6
	v_mul_f32_e32 v68, 0x3f7e222b, v45
	;; [unrolled: 1-line block ×3, first 2 shown]
	v_fmac_f32_e32 v17, 0x3f7e222b, v54
	v_add_f32_e32 v3, v5, v10
	v_add_f32_e32 v2, v2, v4
	v_fmamk_f32 v10, v39, 0x3f29c268, v19
	v_add_f32_e32 v4, v18, v12
	v_fmamk_f32 v12, v46, 0xbf3f9e67, v21
	v_fmac_f32_e32 v19, 0xbf29c268, v39
	v_mul_f32_e32 v78, 0xbf3f9e67, v6
	v_mul_f32_e32 v79, 0xbf6f5d39, v8
	v_fmamk_f32 v91, v38, 0xbf7e222b, v20
	v_add_f32_e32 v5, v17, v13
	v_fmamk_f32 v13, v44, 0x3df6dbef, v68
	v_fma_f32 v17, 0xbf3f9e67, v46, -v21
	v_fmac_f32_e32 v20, 0x3f7e222b, v38
	v_add_f32_e32 v12, v12, v50
	v_add_f32_e32 v19, v19, v51
	v_fmamk_f32 v21, v39, 0x3f6f5d39, v77
	v_mul_f32_e32 v80, 0x3f29c268, v45
	v_mul_f32_e32 v9, 0x3df6dbef, v7
	v_fma_f32 v18, 0x3df6dbef, v44, -v68
	v_add_f32_e32 v17, v17, v50
	v_add_f32_e32 v12, v13, v12
	v_fmamk_f32 v13, v38, 0xbf29c268, v78
	v_add_f32_e32 v19, v20, v19
	v_fmamk_f32 v20, v46, 0xbeb58ec6, v79
	v_fmac_f32_e32 v77, 0xbf6f5d39, v39
	v_add_f32_e32 v21, v21, v51
	v_mul_f32_e32 v89, 0xbf788fa5, v6
	v_mul_f32_e32 v90, 0xbf7e222b, v8
	v_add_f32_e32 v17, v18, v17
	v_fmamk_f32 v18, v44, 0xbf3f9e67, v80
	v_fmac_f32_e32 v78, 0x3f29c268, v38
	v_fma_f32 v68, 0xbeb58ec6, v46, -v79
	v_add_f32_e32 v20, v20, v50
	v_add_f32_e32 v77, v77, v51
	v_add_f32_e32 v13, v13, v21
	v_fmamk_f32 v21, v39, 0x3f7e222b, v9
	v_mul_f32_e32 v82, 0xbe750f2a, v45
	v_mul_f32_e32 v86, 0x3f116cb1, v7
	v_fma_f32 v79, 0xbf3f9e67, v44, -v80
	v_add_f32_e32 v68, v68, v50
	v_add_f32_e32 v18, v18, v20
	v_fmamk_f32 v20, v38, 0x3e750f2a, v89
	v_add_f32_e32 v77, v78, v77
	v_fmamk_f32 v78, v46, 0x3df6dbef, v90
	v_fmac_f32_e32 v9, 0xbf7e222b, v39
	v_add_f32_e32 v21, v21, v51
	v_fma_f32 v80, 0x3df6dbef, v46, -v90
	v_mul_f32_e32 v11, 0xbeb58ec6, v6
	v_mul_f32_e32 v16, 0xbf52af12, v8
	v_add_f32_e32 v68, v79, v68
	v_fmamk_f32 v79, v44, 0xbf788fa5, v82
	v_fmac_f32_e32 v89, 0xbe750f2a, v38
	v_fma_f32 v82, 0xbf788fa5, v44, -v82
	v_add_f32_e32 v78, v78, v50
	v_add_f32_e32 v20, v20, v21
	v_fmamk_f32 v21, v39, 0x3f52af12, v86
	v_add_f32_e32 v9, v9, v51
	v_add_f32_e32 v80, v80, v50
	v_add_f32_e32 v78, v79, v78
	v_fmamk_f32 v79, v38, 0x3f6f5d39, v11
	v_add_f32_e32 v21, v21, v51
	v_add_f32_e32 v9, v89, v9
	v_mul_f32_e32 v89, 0xbf6f5d39, v45
	v_add_f32_e32 v80, v82, v80
	v_fmamk_f32 v82, v46, 0x3f116cb1, v16
	v_fma_f32 v16, 0x3f116cb1, v46, -v16
	v_mul_f32_e32 v69, 0x3f116cb1, v23
	v_mul_f32_e32 v70, 0xbf52af12, v43
	v_add_f32_e32 v21, v79, v21
	v_fmamk_f32 v79, v44, 0xbeb58ec6, v89
	v_add_f32_e32 v82, v82, v50
	v_fma_f32 v89, 0xbeb58ec6, v44, -v89
	v_add_f32_e32 v16, v16, v50
	v_mul_f32_e32 v81, 0x3f62ad3f, v23
	v_mul_f32_e32 v83, 0x3eedf032, v43
	v_add_f32_e32 v79, v79, v82
	v_fmamk_f32 v82, v37, 0x3f52af12, v69
	v_add_f32_e32 v16, v89, v16
	v_fmamk_f32 v89, v42, 0x3f116cb1, v70
	v_fmac_f32_e32 v69, 0xbf52af12, v37
	v_fma_f32 v70, 0x3f116cb1, v42, -v70
	v_mul_f32_e32 v72, 0x3e750f2a, v41
	v_mul_f32_e32 v85, 0xbf7e222b, v41
	v_add_f32_e32 v12, v89, v12
	v_fmamk_f32 v89, v37, 0xbeedf032, v81
	v_add_f32_e32 v19, v69, v19
	v_mul_f32_e32 v69, 0xbeb58ec6, v23
	v_add_f32_e32 v17, v70, v17
	v_fmamk_f32 v70, v42, 0x3f62ad3f, v83
	v_add_f32_e32 v13, v89, v13
	v_mul_f32_e32 v89, 0x3f6f5d39, v43
	v_fma_f32 v83, 0x3f62ad3f, v42, -v83
	v_fmac_f32_e32 v81, 0x3eedf032, v37
	v_add_f32_e32 v18, v70, v18
	v_fmamk_f32 v70, v37, 0xbf6f5d39, v69
	v_fmac_f32_e32 v69, 0x3f6f5d39, v37
	v_add_f32_e32 v68, v83, v68
	v_fmamk_f32 v83, v42, 0xbeb58ec6, v89
	v_fma_f32 v89, 0xbeb58ec6, v42, -v89
	v_add_f32_e32 v20, v70, v20
	v_mul_f32_e32 v70, 0xbe750f2a, v43
	v_add_f32_e32 v77, v81, v77
	v_mul_f32_e32 v81, 0xbf788fa5, v23
	v_add_f32_e32 v80, v89, v80
	v_add_f32_e32 v78, v83, v78
	v_fmamk_f32 v89, v42, 0xbf788fa5, v70
	v_fma_f32 v70, 0xbf788fa5, v42, -v70
	v_fmamk_f32 v83, v37, 0x3e750f2a, v81
	v_add_f32_e32 v9, v69, v9
	v_mul_f32_e32 v69, 0x3f62ad3f, v22
	v_add_f32_e32 v10, v10, v51
	v_add_f32_e32 v16, v70, v16
	v_fmamk_f32 v70, v40, 0xbf788fa5, v72
	v_fma_f32 v72, 0xbf788fa5, v40, -v72
	v_add_f32_e32 v21, v83, v21
	v_mul_f32_e32 v83, 0x3eedf032, v41
	v_mul_f32_e32 v71, 0xbf788fa5, v22
	v_add_f32_e32 v10, v91, v10
	v_add_f32_e32 v17, v72, v17
	v_fmamk_f32 v72, v40, 0x3df6dbef, v85
	v_fma_f32 v85, 0x3df6dbef, v40, -v85
	v_mul_f32_e32 v73, 0x3f62ad3f, v47
	v_add_f32_e32 v10, v82, v10
	v_add_f32_e32 v79, v89, v79
	;; [unrolled: 1-line block ×3, first 2 shown]
	v_fmamk_f32 v72, v28, 0xbeedf032, v69
	v_add_f32_e32 v68, v85, v68
	v_fmamk_f32 v85, v40, 0x3f62ad3f, v83
	v_fma_f32 v83, 0x3f62ad3f, v40, -v83
	v_fmamk_f32 v89, v28, 0xbe750f2a, v71
	v_add_f32_e32 v20, v72, v20
	v_mul_f32_e32 v72, 0x3f29c268, v41
	v_mul_f32_e32 v74, 0x3eedf032, v49
	v_add_f32_e32 v80, v83, v80
	v_mul_f32_e32 v84, 0x3df6dbef, v22
	v_fmac_f32_e32 v86, 0xbf52af12, v39
	v_fmamk_f32 v83, v40, 0xbf3f9e67, v72
	v_add_f32_e32 v10, v89, v10
	v_mul_f32_e32 v87, 0xbf788fa5, v47
	v_fmac_f32_e32 v11, 0xbf6f5d39, v38
	v_add_f32_e32 v86, v86, v51
	v_add_f32_e32 v79, v83, v79
	v_fmamk_f32 v83, v48, 0xbeedf032, v73
	v_add_f32_e32 v12, v70, v12
	v_fmamk_f32 v70, v28, 0x3f7e222b, v84
	v_fmac_f32_e32 v84, 0xbf7e222b, v28
	v_mul_f32_e32 v90, 0x3f62ad3f, v7
	v_add_f32_e32 v7, v83, v10
	v_fmamk_f32 v10, v52, 0x3f62ad3f, v74
	v_mul_f32_e32 v88, 0x3e750f2a, v49
	v_add_f32_e32 v11, v11, v86
	v_fmac_f32_e32 v81, 0xbe750f2a, v37
	v_add_f32_e32 v13, v70, v13
	v_add_f32_e32 v77, v84, v77
	v_mul_f32_e32 v84, 0xbf3f9e67, v22
	v_mul_f32_e32 v91, 0xbeedf032, v8
	v_add_f32_e32 v8, v10, v12
	v_fmamk_f32 v10, v48, 0xbe750f2a, v87
	v_add_f32_e32 v11, v81, v11
	v_mul_f32_e32 v81, 0x3f116cb1, v47
	v_fmac_f32_e32 v71, 0x3e750f2a, v28
	v_fmac_f32_e32 v69, 0x3eedf032, v28
	v_add_f32_e32 v78, v85, v78
	v_fmamk_f32 v85, v28, 0xbf29c268, v84
	v_add_f32_e32 v10, v10, v13
	v_fmamk_f32 v13, v52, 0xbf788fa5, v88
	v_mul_f32_e32 v76, 0xbf6f5d39, v55
	v_mul_f32_e32 v89, 0xbf52af12, v49
	v_add_f32_e32 v19, v71, v19
	v_add_f32_e32 v9, v69, v9
	v_add_f32_e32 v21, v85, v21
	v_mul_f32_e32 v85, 0x3f7e222b, v49
	v_mul_f32_e32 v83, 0x3f116cb1, v6
	v_fmac_f32_e32 v73, 0x3eedf032, v48
	v_fma_f32 v6, 0x3f62ad3f, v52, -v74
	v_fmac_f32_e32 v87, 0x3e750f2a, v48
	v_add_f32_e32 v13, v13, v18
	v_fmamk_f32 v18, v48, 0x3f52af12, v81
	v_fmac_f32_e32 v81, 0xbf52af12, v48
	v_mul_f32_e32 v75, 0xbeb58ec6, v53
	v_mul_f32_e32 v82, 0x3f52af12, v55
	;; [unrolled: 1-line block ×4, first 2 shown]
	v_add_f32_e32 v12, v73, v19
	v_add_f32_e32 v17, v6, v17
	v_fmamk_f32 v6, v67, 0xbeb58ec6, v76
	v_fma_f32 v73, 0xbeb58ec6, v67, -v76
	v_fma_f32 v74, 0xbf788fa5, v52, -v88
	v_add_f32_e32 v76, v87, v77
	v_fma_f32 v87, 0x3f116cb1, v52, -v89
	v_add_f32_e32 v81, v81, v9
	v_fmamk_f32 v9, v52, 0x3df6dbef, v85
	v_mul_f32_e32 v86, 0x3f116cb1, v53
	v_mul_f32_e32 v69, 0x3df6dbef, v47
	v_fmac_f32_e32 v84, 0x3f29c268, v28
	v_fma_f32 v72, 0xbf3f9e67, v40, -v72
	v_fmamk_f32 v19, v54, 0x3f6f5d39, v75
	v_fmac_f32_e32 v75, 0xbf6f5d39, v54
	v_add_f32_e32 v68, v74, v68
	v_fmamk_f32 v74, v67, 0x3f116cb1, v82
	v_add_f32_e32 v18, v18, v20
	v_fmamk_f32 v20, v52, 0x3f116cb1, v89
	v_fma_f32 v82, 0x3f116cb1, v67, -v82
	v_fmamk_f32 v88, v54, 0x3f29c268, v71
	v_add_f32_e32 v80, v87, v80
	v_fmamk_f32 v87, v67, 0xbf3f9e67, v70
	v_fma_f32 v70, 0xbf3f9e67, v67, -v70
	v_add_f32_e32 v79, v9, v79
	v_fmamk_f32 v9, v39, 0x3eedf032, v90
	v_add_f32_e32 v25, v25, v51
	v_add_f32_e32 v26, v26, v50
	;; [unrolled: 1-line block ×3, first 2 shown]
	v_mul_f32_e32 v84, 0x3f62ad3f, v53
	v_add_f32_e32 v16, v72, v16
	v_mul_f32_e32 v72, 0x3eedf032, v55
	v_fmamk_f32 v77, v54, 0xbf52af12, v86
	v_add_f32_e32 v20, v20, v78
	v_fmamk_f32 v78, v48, 0xbf7e222b, v69
	v_fmac_f32_e32 v71, 0xbf29c268, v54
	v_fmac_f32_e32 v69, 0x3f7e222b, v48
	v_add_f32_e32 v92, v9, v51
	v_add_f32_e32 v6, v6, v8
	;; [unrolled: 1-line block ×7, first 2 shown]
	v_fmamk_f32 v68, v38, 0x3f52af12, v83
	v_mul_f32_e32 v70, 0x3df6dbef, v23
	v_fmamk_f32 v23, v46, 0x3f62ad3f, v91
	v_mul_f32_e32 v45, 0xbf52af12, v45
	v_add_f32_e32 v25, v25, v64
	v_add_f32_e32 v24, v26, v24
	;; [unrolled: 1-line block ×3, first 2 shown]
	v_fma_f32 v78, 0x3df6dbef, v52, -v85
	v_add_f32_e32 v69, v69, v11
	v_fmamk_f32 v85, v54, 0xbeedf032, v84
	v_fmamk_f32 v89, v67, 0x3f62ad3f, v72
	v_fmac_f32_e32 v84, 0x3eedf032, v54
	v_add_f32_e32 v7, v19, v7
	v_add_f32_e32 v11, v77, v10
	;; [unrolled: 1-line block ×4, first 2 shown]
	v_fma_f32 v71, 0x3f62ad3f, v67, -v72
	v_add_f32_e32 v68, v68, v92
	v_fmamk_f32 v72, v37, 0x3f7e222b, v70
	v_mul_f32_e32 v73, 0xbeb58ec6, v22
	v_add_f32_e32 v22, v23, v50
	v_fmamk_f32 v74, v44, 0x3f116cb1, v45
	v_mul_f32_e32 v43, 0xbf7e222b, v43
	v_add_f32_e32 v25, v25, v62
	v_add_f32_e32 v24, v24, v33
	;; [unrolled: 1-line block ×4, first 2 shown]
	v_fmamk_f32 v69, v28, 0x3f6f5d39, v73
	v_add_f32_e32 v72, v74, v22
	v_fmamk_f32 v74, v42, 0x3df6dbef, v43
	v_mul_f32_e32 v47, 0xbf3f9e67, v47
	v_fmac_f32_e32 v90, 0xbeedf032, v39
	v_add_f32_e32 v25, v25, v60
	v_add_f32_e32 v24, v24, v32
	;; [unrolled: 1-line block ×4, first 2 shown]
	v_fmamk_f32 v72, v48, 0x3f29c268, v47
	v_mul_f32_e32 v53, 0xbf788fa5, v53
	v_fmac_f32_e32 v83, 0xbf52af12, v38
	v_add_f32_e32 v32, v90, v51
	v_add_f32_e32 v25, v25, v58
	;; [unrolled: 1-line block ×4, first 2 shown]
	v_fmamk_f32 v33, v54, 0x3e750f2a, v53
	v_fmac_f32_e32 v73, 0xbf6f5d39, v28
	v_add_f32_e32 v28, v83, v32
	v_fma_f32 v29, 0x3f62ad3f, v46, -v91
	v_add_f32_e32 v32, v25, v56
	v_add_f32_e32 v24, v24, v27
	;; [unrolled: 1-line block ×3, first 2 shown]
	v_fma_f32 v26, 0x3f116cb1, v44, -v45
	v_add_f32_e32 v27, v29, v50
	v_add_f32_e32 v29, v32, v57
	;; [unrolled: 1-line block ×3, first 2 shown]
	v_fma_f32 v30, 0x3df6dbef, v42, -v43
	v_mul_f32_e32 v41, 0xbf6f5d39, v41
	v_add_f32_e32 v26, v26, v27
	v_add_f32_e32 v27, v29, v59
	;; [unrolled: 1-line block ×4, first 2 shown]
	v_fma_f32 v29, 0xbeb58ec6, v40, -v41
	v_add_f32_e32 v30, v30, v26
	v_add_f32_e32 v31, v27, v61
	v_mad_u64_u32 v[26:27], null, s0, v15, 0
	v_add_f32_e32 v14, v24, v14
	v_add_f32_e32 v29, v29, v30
	;; [unrolled: 1-line block ×3, first 2 shown]
	v_fmac_f32_e32 v70, 0xbf7e222b, v37
	v_add_f32_e32 v22, v71, v78
	v_add_f32_e32 v31, v14, v34
	v_mov_b32_e32 v14, v27
	v_add_f32_e32 v27, v30, v65
	v_fmamk_f32 v71, v40, 0xbeb58ec6, v41
	v_mul_f32_e32 v49, 0xbf29c268, v49
	v_add_f32_e32 v30, v31, v35
	v_mad_u64_u32 v[14:15], null, s1, v15, v[14:15]
	v_add_f32_e32 v31, v27, v66
	s_lshl_b64 s[0:1], s[10:11], 3
	v_add_f32_e32 v28, v70, v28
	s_add_u32 s3, s4, s0
	s_addc_u32 s4, s5, s1
	s_lshl_b64 s[0:1], s[6:7], 3
	v_mov_b32_e32 v27, v14
	s_add_u32 s3, s3, s0
	s_addc_u32 s4, s4, s1
	s_lshl_b64 s[0:1], s[8:9], 3
	v_add_f32_e32 v69, v71, v69
	v_lshlrev_b64 v[14:15], 3, v[26:27]
	v_fmamk_f32 v71, v52, 0xbf3f9e67, v49
	v_fmac_f32_e32 v47, 0xbf29c268, v48
	v_mul_f32_e32 v37, 0xbe750f2a, v55
	v_add_f32_e32 v28, v73, v28
	v_fma_f32 v24, 0xbf3f9e67, v52, -v49
	v_lshlrev_b64 v[26:27], 3, v[0:1]
	v_add_nc_u32_e32 v0, s2, v0
	s_add_u32 s0, s3, s0
	s_addc_u32 s1, s4, s1
	v_add_co_u32 v38, vcc_lo, s0, v14
	v_add_f32_e32 v64, v71, v69
	v_fmac_f32_e32 v53, 0xbe750f2a, v54
	v_fmamk_f32 v33, v67, 0xbf788fa5, v37
	v_add_f32_e32 v28, v47, v28
	v_fma_f32 v32, 0xbf788fa5, v67, -v37
	v_add_f32_e32 v34, v24, v29
	v_add_co_ci_u32_e32 v39, vcc_lo, s1, v15, vcc_lo
	v_lshlrev_b64 v[14:15], 3, v[0:1]
	v_add_nc_u32_e32 v0, s2, v0
	v_add_f32_e32 v24, v33, v64
	v_add_f32_e32 v29, v53, v28
	;; [unrolled: 1-line block ×3, first 2 shown]
	v_add_co_u32 v26, vcc_lo, v38, v26
	v_lshlrev_b64 v[32:33], 3, v[0:1]
	v_add_nc_u32_e32 v0, s2, v0
	v_add_co_ci_u32_e32 v27, vcc_lo, v39, v27, vcc_lo
	v_add_co_u32 v14, vcc_lo, v38, v14
	v_lshlrev_b64 v[34:35], 3, v[0:1]
	v_add_nc_u32_e32 v0, s2, v0
	v_add_co_ci_u32_e32 v15, vcc_lo, v39, v15, vcc_lo
	v_add_co_u32 v32, vcc_lo, v38, v32
	v_add_f32_e32 v30, v30, v36
	v_add_co_ci_u32_e32 v33, vcc_lo, v39, v33, vcc_lo
	v_lshlrev_b64 v[36:37], 3, v[0:1]
	v_add_nc_u32_e32 v0, s2, v0
	v_add_co_u32 v34, vcc_lo, v38, v34
	v_add_co_ci_u32_e32 v35, vcc_lo, v39, v35, vcc_lo
	global_store_dwordx2 v[26:27], v[30:31], off
	global_store_dwordx2 v[14:15], v[28:29], off
	;; [unrolled: 1-line block ×4, first 2 shown]
	v_lshlrev_b64 v[14:15], 3, v[0:1]
	v_add_nc_u32_e32 v0, s2, v0
	v_add_co_u32 v18, vcc_lo, v38, v36
	v_add_co_ci_u32_e32 v19, vcc_lo, v39, v37, vcc_lo
	v_lshlrev_b64 v[22:23], 3, v[0:1]
	v_add_nc_u32_e32 v0, s2, v0
	v_fmac_f32_e32 v86, 0x3f52af12, v54
	v_add_co_u32 v14, vcc_lo, v38, v14
	v_add_co_ci_u32_e32 v15, vcc_lo, v39, v15, vcc_lo
	v_lshlrev_b64 v[26:27], 3, v[0:1]
	v_add_nc_u32_e32 v0, s2, v0
	v_add_co_u32 v22, vcc_lo, v38, v22
	v_add_f32_e32 v13, v86, v76
	v_add_co_ci_u32_e32 v23, vcc_lo, v39, v23, vcc_lo
	v_lshlrev_b64 v[28:29], 3, v[0:1]
	v_add_nc_u32_e32 v0, s2, v0
	v_add_co_u32 v26, vcc_lo, v38, v26
	v_add_co_ci_u32_e32 v27, vcc_lo, v39, v27, vcc_lo
	global_store_dwordx2 v[18:19], v[12:13], off
	global_store_dwordx2 v[14:15], v[8:9], off
	;; [unrolled: 1-line block ×4, first 2 shown]
	v_lshlrev_b64 v[2:3], 3, v[0:1]
	v_add_nc_u32_e32 v0, s2, v0
	v_add_co_u32 v4, vcc_lo, v38, v28
	v_add_co_ci_u32_e32 v5, vcc_lo, v39, v29, vcc_lo
	v_lshlrev_b64 v[8:9], 3, v[0:1]
	v_add_nc_u32_e32 v0, s2, v0
	v_add_co_u32 v2, vcc_lo, v38, v2
	v_add_co_ci_u32_e32 v3, vcc_lo, v39, v3, vcc_lo
	;; [unrolled: 4-line block ×3, first 2 shown]
	v_lshlrev_b64 v[0:1], 3, v[0:1]
	v_add_co_u32 v12, vcc_lo, v38, v12
	v_add_co_ci_u32_e32 v13, vcc_lo, v39, v13, vcc_lo
	v_add_f32_e32 v16, v87, v20
	v_add_co_u32 v0, vcc_lo, v38, v0
	v_add_f32_e32 v21, v85, v21
	v_add_f32_e32 v20, v89, v79
	v_add_co_ci_u32_e32 v1, vcc_lo, v39, v1, vcc_lo
	global_store_dwordx2 v[4:5], v[6:7], off
	global_store_dwordx2 v[2:3], v[10:11], off
	;; [unrolled: 1-line block ×5, first 2 shown]
.LBB0_12:
	s_endpgm
	.section	.rodata,"a",@progbits
	.p2align	6, 0x0
	.amdhsa_kernel fft_rtc_fwd_len169_factors_13_13_wgs_156_tpt_13_sp_op_CI_CI_sbrc_xy_z_unaligned_dirReg
		.amdhsa_group_segment_fixed_size 0
		.amdhsa_private_segment_fixed_size 0
		.amdhsa_kernarg_size 104
		.amdhsa_user_sgpr_count 6
		.amdhsa_user_sgpr_private_segment_buffer 1
		.amdhsa_user_sgpr_dispatch_ptr 0
		.amdhsa_user_sgpr_queue_ptr 0
		.amdhsa_user_sgpr_kernarg_segment_ptr 1
		.amdhsa_user_sgpr_dispatch_id 0
		.amdhsa_user_sgpr_flat_scratch_init 0
		.amdhsa_user_sgpr_private_segment_size 0
		.amdhsa_wavefront_size32 1
		.amdhsa_uses_dynamic_stack 0
		.amdhsa_system_sgpr_private_segment_wavefront_offset 0
		.amdhsa_system_sgpr_workgroup_id_x 1
		.amdhsa_system_sgpr_workgroup_id_y 0
		.amdhsa_system_sgpr_workgroup_id_z 0
		.amdhsa_system_sgpr_workgroup_info 0
		.amdhsa_system_vgpr_workitem_id 0
		.amdhsa_next_free_vgpr 93
		.amdhsa_next_free_sgpr 25
		.amdhsa_reserve_vcc 1
		.amdhsa_reserve_flat_scratch 0
		.amdhsa_float_round_mode_32 0
		.amdhsa_float_round_mode_16_64 0
		.amdhsa_float_denorm_mode_32 3
		.amdhsa_float_denorm_mode_16_64 3
		.amdhsa_dx10_clamp 1
		.amdhsa_ieee_mode 1
		.amdhsa_fp16_overflow 0
		.amdhsa_workgroup_processor_mode 1
		.amdhsa_memory_ordered 1
		.amdhsa_forward_progress 0
		.amdhsa_shared_vgpr_count 0
		.amdhsa_exception_fp_ieee_invalid_op 0
		.amdhsa_exception_fp_denorm_src 0
		.amdhsa_exception_fp_ieee_div_zero 0
		.amdhsa_exception_fp_ieee_overflow 0
		.amdhsa_exception_fp_ieee_underflow 0
		.amdhsa_exception_fp_ieee_inexact 0
		.amdhsa_exception_int_div_zero 0
	.end_amdhsa_kernel
	.text
.Lfunc_end0:
	.size	fft_rtc_fwd_len169_factors_13_13_wgs_156_tpt_13_sp_op_CI_CI_sbrc_xy_z_unaligned_dirReg, .Lfunc_end0-fft_rtc_fwd_len169_factors_13_13_wgs_156_tpt_13_sp_op_CI_CI_sbrc_xy_z_unaligned_dirReg
                                        ; -- End function
	.section	.AMDGPU.csdata,"",@progbits
; Kernel info:
; codeLenInByte = 9692
; NumSgprs: 27
; NumVgprs: 93
; ScratchSize: 0
; MemoryBound: 0
; FloatMode: 240
; IeeeMode: 1
; LDSByteSize: 0 bytes/workgroup (compile time only)
; SGPRBlocks: 3
; VGPRBlocks: 11
; NumSGPRsForWavesPerEU: 27
; NumVGPRsForWavesPerEU: 93
; Occupancy: 10
; WaveLimiterHint : 1
; COMPUTE_PGM_RSRC2:SCRATCH_EN: 0
; COMPUTE_PGM_RSRC2:USER_SGPR: 6
; COMPUTE_PGM_RSRC2:TRAP_HANDLER: 0
; COMPUTE_PGM_RSRC2:TGID_X_EN: 1
; COMPUTE_PGM_RSRC2:TGID_Y_EN: 0
; COMPUTE_PGM_RSRC2:TGID_Z_EN: 0
; COMPUTE_PGM_RSRC2:TIDIG_COMP_CNT: 0
	.text
	.p2alignl 6, 3214868480
	.fill 48, 4, 3214868480
	.type	__hip_cuid_1c284955c1b85c8b,@object ; @__hip_cuid_1c284955c1b85c8b
	.section	.bss,"aw",@nobits
	.globl	__hip_cuid_1c284955c1b85c8b
__hip_cuid_1c284955c1b85c8b:
	.byte	0                               ; 0x0
	.size	__hip_cuid_1c284955c1b85c8b, 1

	.ident	"AMD clang version 19.0.0git (https://github.com/RadeonOpenCompute/llvm-project roc-6.4.0 25133 c7fe45cf4b819c5991fe208aaa96edf142730f1d)"
	.section	".note.GNU-stack","",@progbits
	.addrsig
	.addrsig_sym __hip_cuid_1c284955c1b85c8b
	.amdgpu_metadata
---
amdhsa.kernels:
  - .args:
      - .actual_access:  read_only
        .address_space:  global
        .offset:         0
        .size:           8
        .value_kind:     global_buffer
      - .offset:         8
        .size:           8
        .value_kind:     by_value
      - .actual_access:  read_only
        .address_space:  global
        .offset:         16
        .size:           8
        .value_kind:     global_buffer
      - .actual_access:  read_only
        .address_space:  global
        .offset:         24
        .size:           8
        .value_kind:     global_buffer
      - .actual_access:  read_only
        .address_space:  global
        .offset:         32
        .size:           8
        .value_kind:     global_buffer
      - .offset:         40
        .size:           8
        .value_kind:     by_value
      - .actual_access:  read_only
        .address_space:  global
        .offset:         48
        .size:           8
        .value_kind:     global_buffer
      - .actual_access:  read_only
        .address_space:  global
        .offset:         56
        .size:           8
        .value_kind:     global_buffer
      - .offset:         64
        .size:           4
        .value_kind:     by_value
      - .actual_access:  read_only
        .address_space:  global
        .offset:         72
        .size:           8
        .value_kind:     global_buffer
      - .actual_access:  read_only
        .address_space:  global
        .offset:         80
        .size:           8
        .value_kind:     global_buffer
      - .actual_access:  read_only
        .address_space:  global
        .offset:         88
        .size:           8
        .value_kind:     global_buffer
      - .actual_access:  write_only
        .address_space:  global
        .offset:         96
        .size:           8
        .value_kind:     global_buffer
    .group_segment_fixed_size: 0
    .kernarg_segment_align: 8
    .kernarg_segment_size: 104
    .language:       OpenCL C
    .language_version:
      - 2
      - 0
    .max_flat_workgroup_size: 156
    .name:           fft_rtc_fwd_len169_factors_13_13_wgs_156_tpt_13_sp_op_CI_CI_sbrc_xy_z_unaligned_dirReg
    .private_segment_fixed_size: 0
    .sgpr_count:     27
    .sgpr_spill_count: 0
    .symbol:         fft_rtc_fwd_len169_factors_13_13_wgs_156_tpt_13_sp_op_CI_CI_sbrc_xy_z_unaligned_dirReg.kd
    .uniform_work_group_size: 1
    .uses_dynamic_stack: false
    .vgpr_count:     93
    .vgpr_spill_count: 0
    .wavefront_size: 32
    .workgroup_processor_mode: 1
amdhsa.target:   amdgcn-amd-amdhsa--gfx1030
amdhsa.version:
  - 1
  - 2
...

	.end_amdgpu_metadata
